;; amdgpu-corpus repo=ROCm/rocm-examples kind=compiled arch=gfx1250 opt=O3
	.amdgcn_target "amdgcn-amd-amdhsa--gfx1250"
	.amdhsa_code_object_version 6
	.text
	.protected	_Z9transposePKiPiii     ; -- Begin function _Z9transposePKiPiii
	.globl	_Z9transposePKiPiii
	.p2align	8
	.type	_Z9transposePKiPiii,@function
_Z9transposePKiPiii:                    ; @_Z9transposePKiPiii
; %bb.0:
	s_clause 0x2
	s_load_b32 s8, s[0:1], 0x24
	s_load_b128 s[4:7], s[0:1], 0x0
	s_load_b64 s[2:3], s[0:1], 0x10
	s_bfe_u32 s10, ttmp6, 0x4000c
	s_bfe_u32 s11, ttmp6, 0x40010
	s_add_co_i32 s10, s10, 1
	s_add_co_i32 s11, s11, 1
	s_and_b32 s9, ttmp6, 15
	s_bfe_u32 s12, ttmp6, 0x40004
	s_wait_xcnt 0x0
	s_mul_i32 s0, ttmp9, s10
	s_mul_i32 s1, ttmp7, s11
	s_getreg_b32 s13, hwreg(HW_REG_IB_STS2, 6, 4)
	s_add_co_i32 s9, s9, s0
	s_add_co_i32 s12, s12, s1
	v_and_b32_e32 v1, 0x3ff, v0
	v_bfe_u32 v0, v0, 10, 10
	s_delay_alu instid0(VALU_DEP_1)
	v_lshlrev_b32_e32 v4, 2, v0
	s_wait_kmcnt 0x0
	s_and_b32 s0, s8, 0xffff
	s_lshr_b32 s1, s8, 16
	s_cmp_eq_u32 s13, 0
	s_cselect_b32 s8, ttmp9, s9
	s_cselect_b32 s9, ttmp7, s12
	s_mul_i32 s8, s8, s0
	s_mul_i32 s9, s9, s1
	s_delay_alu instid0(SALU_CYCLE_1) | instskip(SKIP_1) | instid1(VALU_DEP_2)
	v_dual_add_nc_u32 v2, s8, v1 :: v_dual_add_nc_u32 v3, s9, v0
	v_lshl_add_u32 v4, v1, 7, v4
	v_mad_u32 v2, v3, s2, v2
	v_dual_lshlrev_b32 v3, 2, v1 :: v_dual_add_nc_u32 v1, s9, v1
	s_delay_alu instid0(VALU_DEP_1)
	v_lshl_add_u32 v3, v0, 7, v3
	v_add_nc_u32_e32 v0, s8, v0
	global_load_b32 v2, v2, s[4:5] scale_offset
	v_mad_u32 v0, v0, s3, v1
	s_wait_loadcnt 0x0
	ds_store_b32 v3, v2
	s_wait_dscnt 0x0
	s_barrier_signal -1
	s_barrier_wait -1
	ds_load_b32 v2, v4
	s_wait_dscnt 0x0
	global_store_b32 v0, v2, s[6:7] scale_offset
	s_endpgm
	.section	.rodata,"a",@progbits
	.p2align	6, 0x0
	.amdhsa_kernel _Z9transposePKiPiii
		.amdhsa_group_segment_fixed_size 4096
		.amdhsa_private_segment_fixed_size 0
		.amdhsa_kernarg_size 280
		.amdhsa_user_sgpr_count 2
		.amdhsa_user_sgpr_dispatch_ptr 0
		.amdhsa_user_sgpr_queue_ptr 0
		.amdhsa_user_sgpr_kernarg_segment_ptr 1
		.amdhsa_user_sgpr_dispatch_id 0
		.amdhsa_user_sgpr_kernarg_preload_length 0
		.amdhsa_user_sgpr_kernarg_preload_offset 0
		.amdhsa_user_sgpr_private_segment_size 0
		.amdhsa_wavefront_size32 1
		.amdhsa_uses_dynamic_stack 0
		.amdhsa_enable_private_segment 0
		.amdhsa_system_sgpr_workgroup_id_x 1
		.amdhsa_system_sgpr_workgroup_id_y 1
		.amdhsa_system_sgpr_workgroup_id_z 0
		.amdhsa_system_sgpr_workgroup_info 0
		.amdhsa_system_vgpr_workitem_id 1
		.amdhsa_next_free_vgpr 5
		.amdhsa_next_free_sgpr 14
		.amdhsa_named_barrier_count 0
		.amdhsa_reserve_vcc 0
		.amdhsa_float_round_mode_32 0
		.amdhsa_float_round_mode_16_64 0
		.amdhsa_float_denorm_mode_32 3
		.amdhsa_float_denorm_mode_16_64 3
		.amdhsa_fp16_overflow 0
		.amdhsa_memory_ordered 1
		.amdhsa_forward_progress 1
		.amdhsa_inst_pref_size 3
		.amdhsa_round_robin_scheduling 0
		.amdhsa_exception_fp_ieee_invalid_op 0
		.amdhsa_exception_fp_denorm_src 0
		.amdhsa_exception_fp_ieee_div_zero 0
		.amdhsa_exception_fp_ieee_overflow 0
		.amdhsa_exception_fp_ieee_underflow 0
		.amdhsa_exception_fp_ieee_inexact 0
		.amdhsa_exception_int_div_zero 0
	.end_amdhsa_kernel
	.text
.Lfunc_end0:
	.size	_Z9transposePKiPiii, .Lfunc_end0-_Z9transposePKiPiii
                                        ; -- End function
	.set _Z9transposePKiPiii.num_vgpr, 5
	.set _Z9transposePKiPiii.num_agpr, 0
	.set _Z9transposePKiPiii.numbered_sgpr, 14
	.set _Z9transposePKiPiii.num_named_barrier, 0
	.set _Z9transposePKiPiii.private_seg_size, 0
	.set _Z9transposePKiPiii.uses_vcc, 0
	.set _Z9transposePKiPiii.uses_flat_scratch, 0
	.set _Z9transposePKiPiii.has_dyn_sized_stack, 0
	.set _Z9transposePKiPiii.has_recursion, 0
	.set _Z9transposePKiPiii.has_indirect_call, 0
	.section	.AMDGPU.csdata,"",@progbits
; Kernel info:
; codeLenInByte = 280
; TotalNumSgprs: 14
; NumVgprs: 5
; ScratchSize: 0
; MemoryBound: 0
; FloatMode: 240
; IeeeMode: 1
; LDSByteSize: 4096 bytes/workgroup (compile time only)
; SGPRBlocks: 0
; VGPRBlocks: 0
; NumSGPRsForWavesPerEU: 14
; NumVGPRsForWavesPerEU: 5
; NamedBarCnt: 0
; Occupancy: 16
; WaveLimiterHint : 0
; COMPUTE_PGM_RSRC2:SCRATCH_EN: 0
; COMPUTE_PGM_RSRC2:USER_SGPR: 2
; COMPUTE_PGM_RSRC2:TRAP_HANDLER: 0
; COMPUTE_PGM_RSRC2:TGID_X_EN: 1
; COMPUTE_PGM_RSRC2:TGID_Y_EN: 1
; COMPUTE_PGM_RSRC2:TGID_Z_EN: 0
; COMPUTE_PGM_RSRC2:TIDIG_COMP_CNT: 1
	.text
	.protected	_Z15test_kern_largePm   ; -- Begin function _Z15test_kern_largePm
	.globl	_Z15test_kern_largePm
	.p2align	8
	.type	_Z15test_kern_largePm,@function
_Z15test_kern_largePm:                  ; @_Z15test_kern_largePm
; %bb.0:
	s_mov_b32 s4, 0x5050505
	v_mov_b32_e32 v4, 0x5050505
	s_mov_b32 s5, s4
	s_mov_b32 s6, s4
	;; [unrolled: 1-line block ×3, first 2 shown]
	v_mov_b64_e32 v[0:1], s[4:5]
	v_mov_b64_e32 v[2:3], s[6:7]
	s_mov_b64 s[2:3], 0xfffffffffffff060
	s_mov_b32 s4, 0
.LBB1_1:                                ; =>This Inner Loop Header: Depth=1
	s_add_nc_u64 s[2:3], s[2:3], 0x64
	s_clause 0x6
	scratch_store_b128 off, v[0:3], s4
	scratch_store_b128 off, v[0:3], s4 offset:16
	scratch_store_b128 off, v[0:3], s4 offset:32
	;; [unrolled: 1-line block ×5, first 2 shown]
	scratch_store_b32 off, v4, s4 offset:96
	s_wait_xcnt 0x0
	s_addk_co_i32 s4, 0x64
	s_cmp_lg_u64 s[2:3], 0
	s_cbranch_scc1 .LBB1_1
; %bb.2:
	s_load_b64 s[0:1], s[0:1], 0x0
	s_wait_kmcnt 0x0
	s_load_b64 s[2:3], s[0:1], 0x0
	s_wait_kmcnt 0x0
	v_mov_b64_e32 v[0:1], s[2:3]
	s_mov_b32 s2, 0
.LBB1_3:                                ; =>This Inner Loop Header: Depth=1
	s_clause 0x3
	scratch_load_b128 v[2:5], off, s2
	scratch_load_b128 v[6:9], off, s2 offset:16
	scratch_load_b128 v[10:13], off, s2 offset:32
	;; [unrolled: 1-line block ×3, first 2 shown]
	s_mov_b32 s3, s2
	s_wait_xcnt 0x0
	s_add_co_i32 s2, s2, 64
	s_delay_alu instid0(SALU_CYCLE_1)
	s_cmp_eq_u32 s2, 0x3e80
	s_wait_loadcnt 0x3
	v_dual_add_nc_u32 v18, 7, v2 :: v_dual_add_nc_u32 v26, 7, v3
	s_wait_loadcnt 0x2
	v_dual_add_nc_u32 v20, 7, v4 :: v_dual_add_nc_u32 v22, 7, v6
	s_wait_loadcnt 0x1
	s_delay_alu instid0(VALU_DEP_2) | instskip(NEXT) | instid1(VALU_DEP_2)
	v_dual_add_nc_u32 v4, 7, v12 :: v_dual_ashrrev_i32 v19, 31, v18
	v_dual_ashrrev_i32 v27, 31, v26 :: v_dual_ashrrev_i32 v21, 31, v20
	v_dual_add_nc_u32 v28, 7, v7 :: v_dual_add_nc_u32 v24, 7, v8
	s_delay_alu instid0(VALU_DEP_3) | instskip(SKIP_2) | instid1(VALU_DEP_4)
	v_add_nc_u64_e32 v[0:1], v[0:1], v[18:19]
	v_ashrrev_i32_e32 v23, 31, v22
	v_dual_add_nc_u32 v2, 7, v10 :: v_dual_add_nc_u32 v10, 7, v11
	v_ashrrev_i32_e32 v25, 31, v24
	s_wait_loadcnt 0x0
	v_dual_ashrrev_i32 v29, 31, v28 :: v_dual_add_nc_u32 v12, 7, v15
	v_add_nc_u64_e32 v[0:1], v[0:1], v[26:27]
	v_ashrrev_i32_e32 v3, 31, v2
	v_dual_ashrrev_i32 v11, 31, v10 :: v_dual_mov_b32 v19, v26
	s_delay_alu instid0(VALU_DEP_3) | instskip(SKIP_1) | instid1(VALU_DEP_1)
	v_add_nc_u64_e32 v[0:1], v[0:1], v[20:21]
	v_dual_add_nc_u32 v21, 7, v5 :: v_dual_ashrrev_i32 v5, 31, v4
	v_dual_mov_b32 v6, v21 :: v_dual_ashrrev_i32 v7, 31, v21
	s_delay_alu instid0(VALU_DEP_1) | instskip(NEXT) | instid1(VALU_DEP_1)
	v_add_nc_u64_e32 v[0:1], v[0:1], v[6:7]
	v_add_nc_u64_e32 v[0:1], v[0:1], v[22:23]
	v_mov_b32_e32 v23, v28
	s_delay_alu instid0(VALU_DEP_2) | instskip(NEXT) | instid1(VALU_DEP_1)
	v_add_nc_u64_e32 v[0:1], v[0:1], v[28:29]
	v_add_nc_u64_e32 v[0:1], v[0:1], v[24:25]
	v_add_nc_u32_e32 v25, 7, v9
	s_delay_alu instid0(VALU_DEP_1) | instskip(NEXT) | instid1(VALU_DEP_1)
	v_dual_mov_b32 v6, v25 :: v_dual_ashrrev_i32 v7, 31, v25
	v_add_nc_u64_e32 v[0:1], v[0:1], v[6:7]
	v_add_nc_u32_e32 v6, 7, v14
	s_delay_alu instid0(VALU_DEP_1) | instskip(NEXT) | instid1(VALU_DEP_3)
	v_ashrrev_i32_e32 v7, 31, v6
	v_add_nc_u64_e32 v[0:1], v[0:1], v[2:3]
	v_mov_b32_e32 v3, v10
	s_delay_alu instid0(VALU_DEP_2) | instskip(NEXT) | instid1(VALU_DEP_1)
	v_add_nc_u64_e32 v[0:1], v[0:1], v[10:11]
	v_add_nc_u64_e32 v[0:1], v[0:1], v[4:5]
	v_dual_add_nc_u32 v5, 7, v13 :: v_dual_ashrrev_i32 v13, 31, v12
	s_delay_alu instid0(VALU_DEP_1) | instskip(NEXT) | instid1(VALU_DEP_1)
	v_dual_mov_b32 v8, v5 :: v_dual_ashrrev_i32 v9, 31, v5
	v_add_nc_u64_e32 v[0:1], v[0:1], v[8:9]
	v_add_nc_u32_e32 v8, 7, v16
	s_delay_alu instid0(VALU_DEP_1) | instskip(NEXT) | instid1(VALU_DEP_3)
	v_ashrrev_i32_e32 v9, 31, v8
	v_add_nc_u64_e32 v[0:1], v[0:1], v[6:7]
	v_mov_b32_e32 v7, v12
	s_delay_alu instid0(VALU_DEP_2) | instskip(NEXT) | instid1(VALU_DEP_1)
	v_add_nc_u64_e32 v[0:1], v[0:1], v[12:13]
	v_add_nc_u64_e32 v[0:1], v[0:1], v[8:9]
	v_add_nc_u32_e32 v9, 7, v17
	s_delay_alu instid0(VALU_DEP_1)
	v_dual_mov_b32 v14, v9 :: v_dual_ashrrev_i32 v15, 31, v9
	s_clause 0x3
	scratch_store_b128 off, v[18:21], s3
	scratch_store_b128 off, v[22:25], s3 offset:16
	scratch_store_b128 off, v[2:5], s3 offset:32
	;; [unrolled: 1-line block ×3, first 2 shown]
	v_add_nc_u64_e32 v[0:1], v[0:1], v[14:15]
	s_cbranch_scc0 .LBB1_3
; %bb.4:
	s_wait_xcnt 0x1
	v_mov_b32_e32 v2, 0
	global_store_b64 v2, v[0:1], s[0:1]
	s_endpgm
	.section	.rodata,"a",@progbits
	.p2align	6, 0x0
	.amdhsa_kernel _Z15test_kern_largePm
		.amdhsa_group_segment_fixed_size 0
		.amdhsa_private_segment_fixed_size 16016
		.amdhsa_kernarg_size 8
		.amdhsa_user_sgpr_count 2
		.amdhsa_user_sgpr_dispatch_ptr 0
		.amdhsa_user_sgpr_queue_ptr 0
		.amdhsa_user_sgpr_kernarg_segment_ptr 1
		.amdhsa_user_sgpr_dispatch_id 0
		.amdhsa_user_sgpr_kernarg_preload_length 0
		.amdhsa_user_sgpr_kernarg_preload_offset 0
		.amdhsa_user_sgpr_private_segment_size 0
		.amdhsa_wavefront_size32 1
		.amdhsa_uses_dynamic_stack 0
		.amdhsa_enable_private_segment 1
		.amdhsa_system_sgpr_workgroup_id_x 1
		.amdhsa_system_sgpr_workgroup_id_y 0
		.amdhsa_system_sgpr_workgroup_id_z 0
		.amdhsa_system_sgpr_workgroup_info 0
		.amdhsa_system_vgpr_workitem_id 0
		.amdhsa_next_free_vgpr 30
		.amdhsa_next_free_sgpr 8
		.amdhsa_named_barrier_count 0
		.amdhsa_reserve_vcc 0
		.amdhsa_float_round_mode_32 0
		.amdhsa_float_round_mode_16_64 0
		.amdhsa_float_denorm_mode_32 3
		.amdhsa_float_denorm_mode_16_64 3
		.amdhsa_fp16_overflow 0
		.amdhsa_memory_ordered 1
		.amdhsa_forward_progress 1
		.amdhsa_inst_pref_size 6
		.amdhsa_round_robin_scheduling 0
		.amdhsa_exception_fp_ieee_invalid_op 0
		.amdhsa_exception_fp_denorm_src 0
		.amdhsa_exception_fp_ieee_div_zero 0
		.amdhsa_exception_fp_ieee_overflow 0
		.amdhsa_exception_fp_ieee_underflow 0
		.amdhsa_exception_fp_ieee_inexact 0
		.amdhsa_exception_int_div_zero 0
	.end_amdhsa_kernel
	.text
.Lfunc_end1:
	.size	_Z15test_kern_largePm, .Lfunc_end1-_Z15test_kern_largePm
                                        ; -- End function
	.set _Z15test_kern_largePm.num_vgpr, 30
	.set _Z15test_kern_largePm.num_agpr, 0
	.set _Z15test_kern_largePm.numbered_sgpr, 8
	.set _Z15test_kern_largePm.num_named_barrier, 0
	.set _Z15test_kern_largePm.private_seg_size, 16016
	.set _Z15test_kern_largePm.uses_vcc, 0
	.set _Z15test_kern_largePm.uses_flat_scratch, 1
	.set _Z15test_kern_largePm.has_dyn_sized_stack, 0
	.set _Z15test_kern_largePm.has_recursion, 0
	.set _Z15test_kern_largePm.has_indirect_call, 0
	.section	.AMDGPU.csdata,"",@progbits
; Kernel info:
; codeLenInByte = 676
; TotalNumSgprs: 8
; NumVgprs: 30
; ScratchSize: 16016
; MemoryBound: 0
; FloatMode: 240
; IeeeMode: 1
; LDSByteSize: 0 bytes/workgroup (compile time only)
; SGPRBlocks: 0
; VGPRBlocks: 1
; NumSGPRsForWavesPerEU: 8
; NumVGPRsForWavesPerEU: 30
; NamedBarCnt: 0
; Occupancy: 16
; WaveLimiterHint : 0
; COMPUTE_PGM_RSRC2:SCRATCH_EN: 1
; COMPUTE_PGM_RSRC2:USER_SGPR: 2
; COMPUTE_PGM_RSRC2:TRAP_HANDLER: 0
; COMPUTE_PGM_RSRC2:TGID_X_EN: 1
; COMPUTE_PGM_RSRC2:TGID_Y_EN: 0
; COMPUTE_PGM_RSRC2:TGID_Z_EN: 0
; COMPUTE_PGM_RSRC2:TIDIG_COMP_CNT: 0
	.text
	.protected	_Z16test_kern_mediumPm  ; -- Begin function _Z16test_kern_mediumPm
	.globl	_Z16test_kern_mediumPm
	.p2align	8
	.type	_Z16test_kern_mediumPm,@function
_Z16test_kern_mediumPm:                 ; @_Z16test_kern_mediumPm
; %bb.0:
	s_load_b64 s[0:1], s[0:1], 0x0
	s_mov_b64 s[4:5], 0xd7dcde10
	v_mov_b32_e32 v2, 0
	s_wait_kmcnt 0x0
	s_load_b64 s[2:3], s[0:1], 0x0
	s_wait_kmcnt 0x0
	s_add_nc_u64 s[2:3], s[2:3], s[4:5]
	s_delay_alu instid0(SALU_CYCLE_1)
	v_mov_b64_e32 v[0:1], s[2:3]
	global_store_b64 v2, v[0:1], s[0:1]
	s_endpgm
	.section	.rodata,"a",@progbits
	.p2align	6, 0x0
	.amdhsa_kernel _Z16test_kern_mediumPm
		.amdhsa_group_segment_fixed_size 0
		.amdhsa_private_segment_fixed_size 0
		.amdhsa_kernarg_size 8
		.amdhsa_user_sgpr_count 2
		.amdhsa_user_sgpr_dispatch_ptr 0
		.amdhsa_user_sgpr_queue_ptr 0
		.amdhsa_user_sgpr_kernarg_segment_ptr 1
		.amdhsa_user_sgpr_dispatch_id 0
		.amdhsa_user_sgpr_kernarg_preload_length 0
		.amdhsa_user_sgpr_kernarg_preload_offset 0
		.amdhsa_user_sgpr_private_segment_size 0
		.amdhsa_wavefront_size32 1
		.amdhsa_uses_dynamic_stack 0
		.amdhsa_enable_private_segment 0
		.amdhsa_system_sgpr_workgroup_id_x 1
		.amdhsa_system_sgpr_workgroup_id_y 0
		.amdhsa_system_sgpr_workgroup_id_z 0
		.amdhsa_system_sgpr_workgroup_info 0
		.amdhsa_system_vgpr_workitem_id 0
		.amdhsa_next_free_vgpr 3
		.amdhsa_next_free_sgpr 6
		.amdhsa_named_barrier_count 0
		.amdhsa_reserve_vcc 0
		.amdhsa_float_round_mode_32 0
		.amdhsa_float_round_mode_16_64 0
		.amdhsa_float_denorm_mode_32 3
		.amdhsa_float_denorm_mode_16_64 3
		.amdhsa_fp16_overflow 0
		.amdhsa_memory_ordered 1
		.amdhsa_forward_progress 1
		.amdhsa_inst_pref_size 1
		.amdhsa_round_robin_scheduling 0
		.amdhsa_exception_fp_ieee_invalid_op 0
		.amdhsa_exception_fp_denorm_src 0
		.amdhsa_exception_fp_ieee_div_zero 0
		.amdhsa_exception_fp_ieee_overflow 0
		.amdhsa_exception_fp_ieee_underflow 0
		.amdhsa_exception_fp_ieee_inexact 0
		.amdhsa_exception_int_div_zero 0
	.end_amdhsa_kernel
	.text
.Lfunc_end2:
	.size	_Z16test_kern_mediumPm, .Lfunc_end2-_Z16test_kern_mediumPm
                                        ; -- End function
	.set _Z16test_kern_mediumPm.num_vgpr, 3
	.set _Z16test_kern_mediumPm.num_agpr, 0
	.set _Z16test_kern_mediumPm.numbered_sgpr, 6
	.set _Z16test_kern_mediumPm.num_named_barrier, 0
	.set _Z16test_kern_mediumPm.private_seg_size, 0
	.set _Z16test_kern_mediumPm.uses_vcc, 0
	.set _Z16test_kern_mediumPm.uses_flat_scratch, 0
	.set _Z16test_kern_mediumPm.has_dyn_sized_stack, 0
	.set _Z16test_kern_mediumPm.has_recursion, 0
	.set _Z16test_kern_mediumPm.has_indirect_call, 0
	.section	.AMDGPU.csdata,"",@progbits
; Kernel info:
; codeLenInByte = 64
; TotalNumSgprs: 6
; NumVgprs: 3
; ScratchSize: 0
; MemoryBound: 0
; FloatMode: 240
; IeeeMode: 1
; LDSByteSize: 0 bytes/workgroup (compile time only)
; SGPRBlocks: 0
; VGPRBlocks: 0
; NumSGPRsForWavesPerEU: 6
; NumVGPRsForWavesPerEU: 3
; NamedBarCnt: 0
; Occupancy: 16
; WaveLimiterHint : 0
; COMPUTE_PGM_RSRC2:SCRATCH_EN: 0
; COMPUTE_PGM_RSRC2:USER_SGPR: 2
; COMPUTE_PGM_RSRC2:TRAP_HANDLER: 0
; COMPUTE_PGM_RSRC2:TGID_X_EN: 1
; COMPUTE_PGM_RSRC2:TGID_Y_EN: 0
; COMPUTE_PGM_RSRC2:TGID_Z_EN: 0
; COMPUTE_PGM_RSRC2:TIDIG_COMP_CNT: 0
	.text
	.protected	_Z15test_kern_smallPm   ; -- Begin function _Z15test_kern_smallPm
	.globl	_Z15test_kern_smallPm
	.p2align	8
	.type	_Z15test_kern_smallPm,@function
_Z15test_kern_smallPm:                  ; @_Z15test_kern_smallPm
; %bb.0:
	s_endpgm
	.section	.rodata,"a",@progbits
	.p2align	6, 0x0
	.amdhsa_kernel _Z15test_kern_smallPm
		.amdhsa_group_segment_fixed_size 0
		.amdhsa_private_segment_fixed_size 0
		.amdhsa_kernarg_size 8
		.amdhsa_user_sgpr_count 2
		.amdhsa_user_sgpr_dispatch_ptr 0
		.amdhsa_user_sgpr_queue_ptr 0
		.amdhsa_user_sgpr_kernarg_segment_ptr 1
		.amdhsa_user_sgpr_dispatch_id 0
		.amdhsa_user_sgpr_kernarg_preload_length 0
		.amdhsa_user_sgpr_kernarg_preload_offset 0
		.amdhsa_user_sgpr_private_segment_size 0
		.amdhsa_wavefront_size32 1
		.amdhsa_uses_dynamic_stack 0
		.amdhsa_enable_private_segment 0
		.amdhsa_system_sgpr_workgroup_id_x 1
		.amdhsa_system_sgpr_workgroup_id_y 0
		.amdhsa_system_sgpr_workgroup_id_z 0
		.amdhsa_system_sgpr_workgroup_info 0
		.amdhsa_system_vgpr_workitem_id 0
		.amdhsa_next_free_vgpr 1
		.amdhsa_next_free_sgpr 1
		.amdhsa_named_barrier_count 0
		.amdhsa_reserve_vcc 0
		.amdhsa_float_round_mode_32 0
		.amdhsa_float_round_mode_16_64 0
		.amdhsa_float_denorm_mode_32 3
		.amdhsa_float_denorm_mode_16_64 3
		.amdhsa_fp16_overflow 0
		.amdhsa_memory_ordered 1
		.amdhsa_forward_progress 1
		.amdhsa_inst_pref_size 1
		.amdhsa_round_robin_scheduling 0
		.amdhsa_exception_fp_ieee_invalid_op 0
		.amdhsa_exception_fp_denorm_src 0
		.amdhsa_exception_fp_ieee_div_zero 0
		.amdhsa_exception_fp_ieee_overflow 0
		.amdhsa_exception_fp_ieee_underflow 0
		.amdhsa_exception_fp_ieee_inexact 0
		.amdhsa_exception_int_div_zero 0
	.end_amdhsa_kernel
	.text
.Lfunc_end3:
	.size	_Z15test_kern_smallPm, .Lfunc_end3-_Z15test_kern_smallPm
                                        ; -- End function
	.set _Z15test_kern_smallPm.num_vgpr, 0
	.set _Z15test_kern_smallPm.num_agpr, 0
	.set _Z15test_kern_smallPm.numbered_sgpr, 0
	.set _Z15test_kern_smallPm.num_named_barrier, 0
	.set _Z15test_kern_smallPm.private_seg_size, 0
	.set _Z15test_kern_smallPm.uses_vcc, 0
	.set _Z15test_kern_smallPm.uses_flat_scratch, 0
	.set _Z15test_kern_smallPm.has_dyn_sized_stack, 0
	.set _Z15test_kern_smallPm.has_recursion, 0
	.set _Z15test_kern_smallPm.has_indirect_call, 0
	.section	.AMDGPU.csdata,"",@progbits
; Kernel info:
; codeLenInByte = 4
; TotalNumSgprs: 0
; NumVgprs: 0
; ScratchSize: 0
; MemoryBound: 0
; FloatMode: 240
; IeeeMode: 1
; LDSByteSize: 0 bytes/workgroup (compile time only)
; SGPRBlocks: 0
; VGPRBlocks: 0
; NumSGPRsForWavesPerEU: 1
; NumVGPRsForWavesPerEU: 1
; NamedBarCnt: 0
; Occupancy: 16
; WaveLimiterHint : 0
; COMPUTE_PGM_RSRC2:SCRATCH_EN: 0
; COMPUTE_PGM_RSRC2:USER_SGPR: 2
; COMPUTE_PGM_RSRC2:TRAP_HANDLER: 0
; COMPUTE_PGM_RSRC2:TGID_X_EN: 1
; COMPUTE_PGM_RSRC2:TGID_Y_EN: 0
; COMPUTE_PGM_RSRC2:TGID_Z_EN: 0
; COMPUTE_PGM_RSRC2:TIDIG_COMP_CNT: 0
	.section	.text._Z17test_page_migrateImEvPT_S0_,"axG",@progbits,_Z17test_page_migrateImEvPT_S0_,comdat
	.protected	_Z17test_page_migrateImEvPT_S0_ ; -- Begin function _Z17test_page_migrateImEvPT_S0_
	.globl	_Z17test_page_migrateImEvPT_S0_
	.p2align	8
	.type	_Z17test_page_migrateImEvPT_S0_,@function
_Z17test_page_migrateImEvPT_S0_:        ; @_Z17test_page_migrateImEvPT_S0_
; %bb.0:
	s_clause 0x1
	s_load_b32 s2, s[0:1], 0x1c
	s_load_b128 s[4:7], s[0:1], 0x0
	s_wait_xcnt 0x0
	s_bfe_u32 s0, ttmp6, 0x4000c
	s_and_b32 s1, ttmp6, 15
	s_add_co_i32 s0, s0, 1
	s_getreg_b32 s3, hwreg(HW_REG_IB_STS2, 6, 4)
	s_mul_i32 s0, ttmp9, s0
	s_delay_alu instid0(SALU_CYCLE_1) | instskip(SKIP_4) | instid1(SALU_CYCLE_1)
	s_add_co_i32 s1, s1, s0
	s_wait_kmcnt 0x0
	s_and_b32 s2, s2, 0xffff
	s_cmp_eq_u32 s3, 0
	s_cselect_b32 s0, ttmp9, s1
	v_mad_u32 v2, s0, s2, v0
	global_load_b64 v[0:1], v2, s[4:5] scale_offset
	s_wait_loadcnt 0x0
	v_add_nc_u64_e32 v[0:1], s[6:7], v[0:1]
	global_store_b64 v2, v[0:1], s[4:5] scale_offset
	s_endpgm
	.section	.rodata,"a",@progbits
	.p2align	6, 0x0
	.amdhsa_kernel _Z17test_page_migrateImEvPT_S0_
		.amdhsa_group_segment_fixed_size 0
		.amdhsa_private_segment_fixed_size 0
		.amdhsa_kernarg_size 272
		.amdhsa_user_sgpr_count 2
		.amdhsa_user_sgpr_dispatch_ptr 0
		.amdhsa_user_sgpr_queue_ptr 0
		.amdhsa_user_sgpr_kernarg_segment_ptr 1
		.amdhsa_user_sgpr_dispatch_id 0
		.amdhsa_user_sgpr_kernarg_preload_length 0
		.amdhsa_user_sgpr_kernarg_preload_offset 0
		.amdhsa_user_sgpr_private_segment_size 0
		.amdhsa_wavefront_size32 1
		.amdhsa_uses_dynamic_stack 0
		.amdhsa_enable_private_segment 0
		.amdhsa_system_sgpr_workgroup_id_x 1
		.amdhsa_system_sgpr_workgroup_id_y 0
		.amdhsa_system_sgpr_workgroup_id_z 0
		.amdhsa_system_sgpr_workgroup_info 0
		.amdhsa_system_vgpr_workitem_id 0
		.amdhsa_next_free_vgpr 3
		.amdhsa_next_free_sgpr 8
		.amdhsa_named_barrier_count 0
		.amdhsa_reserve_vcc 0
		.amdhsa_float_round_mode_32 0
		.amdhsa_float_round_mode_16_64 0
		.amdhsa_float_denorm_mode_32 3
		.amdhsa_float_denorm_mode_16_64 3
		.amdhsa_fp16_overflow 0
		.amdhsa_memory_ordered 1
		.amdhsa_forward_progress 1
		.amdhsa_inst_pref_size 1
		.amdhsa_round_robin_scheduling 0
		.amdhsa_exception_fp_ieee_invalid_op 0
		.amdhsa_exception_fp_denorm_src 0
		.amdhsa_exception_fp_ieee_div_zero 0
		.amdhsa_exception_fp_ieee_overflow 0
		.amdhsa_exception_fp_ieee_underflow 0
		.amdhsa_exception_fp_ieee_inexact 0
		.amdhsa_exception_int_div_zero 0
	.end_amdhsa_kernel
	.section	.text._Z17test_page_migrateImEvPT_S0_,"axG",@progbits,_Z17test_page_migrateImEvPT_S0_,comdat
.Lfunc_end4:
	.size	_Z17test_page_migrateImEvPT_S0_, .Lfunc_end4-_Z17test_page_migrateImEvPT_S0_
                                        ; -- End function
	.set _Z17test_page_migrateImEvPT_S0_.num_vgpr, 3
	.set _Z17test_page_migrateImEvPT_S0_.num_agpr, 0
	.set _Z17test_page_migrateImEvPT_S0_.numbered_sgpr, 8
	.set _Z17test_page_migrateImEvPT_S0_.num_named_barrier, 0
	.set _Z17test_page_migrateImEvPT_S0_.private_seg_size, 0
	.set _Z17test_page_migrateImEvPT_S0_.uses_vcc, 0
	.set _Z17test_page_migrateImEvPT_S0_.uses_flat_scratch, 0
	.set _Z17test_page_migrateImEvPT_S0_.has_dyn_sized_stack, 0
	.set _Z17test_page_migrateImEvPT_S0_.has_recursion, 0
	.set _Z17test_page_migrateImEvPT_S0_.has_indirect_call, 0
	.section	.AMDGPU.csdata,"",@progbits
; Kernel info:
; codeLenInByte = 120
; TotalNumSgprs: 8
; NumVgprs: 3
; ScratchSize: 0
; MemoryBound: 0
; FloatMode: 240
; IeeeMode: 1
; LDSByteSize: 0 bytes/workgroup (compile time only)
; SGPRBlocks: 0
; VGPRBlocks: 0
; NumSGPRsForWavesPerEU: 8
; NumVGPRsForWavesPerEU: 3
; NamedBarCnt: 0
; Occupancy: 16
; WaveLimiterHint : 0
; COMPUTE_PGM_RSRC2:SCRATCH_EN: 0
; COMPUTE_PGM_RSRC2:USER_SGPR: 2
; COMPUTE_PGM_RSRC2:TRAP_HANDLER: 0
; COMPUTE_PGM_RSRC2:TGID_X_EN: 1
; COMPUTE_PGM_RSRC2:TGID_Y_EN: 0
; COMPUTE_PGM_RSRC2:TGID_Z_EN: 0
; COMPUTE_PGM_RSRC2:TIDIG_COMP_CNT: 0
	.text
	.p2alignl 7, 3214868480
	.fill 96, 4, 3214868480
	.section	.AMDGPU.gpr_maximums,"",@progbits
	.set amdgpu.max_num_vgpr, 0
	.set amdgpu.max_num_agpr, 0
	.set amdgpu.max_num_sgpr, 0
	.text
	.type	__hip_cuid_d529301bc30357ab,@object ; @__hip_cuid_d529301bc30357ab
	.section	.bss,"aw",@nobits
	.globl	__hip_cuid_d529301bc30357ab
__hip_cuid_d529301bc30357ab:
	.byte	0                               ; 0x0
	.size	__hip_cuid_d529301bc30357ab, 1

	.ident	"AMD clang version 22.0.0git (https://github.com/RadeonOpenCompute/llvm-project roc-7.2.4 26084 f58b06dce1f9c15707c5f808fd002e18c2accf7e)"
	.section	".note.GNU-stack","",@progbits
	.addrsig
	.addrsig_sym __hip_cuid_d529301bc30357ab
	.amdgpu_metadata
---
amdhsa.kernels:
  - .args:
      - .address_space:  global
        .offset:         0
        .size:           8
        .value_kind:     global_buffer
      - .address_space:  global
        .offset:         8
        .size:           8
        .value_kind:     global_buffer
      - .offset:         16
        .size:           4
        .value_kind:     by_value
      - .offset:         20
        .size:           4
        .value_kind:     by_value
      - .offset:         24
        .size:           4
        .value_kind:     hidden_block_count_x
      - .offset:         28
        .size:           4
        .value_kind:     hidden_block_count_y
      - .offset:         32
        .size:           4
        .value_kind:     hidden_block_count_z
      - .offset:         36
        .size:           2
        .value_kind:     hidden_group_size_x
      - .offset:         38
        .size:           2
        .value_kind:     hidden_group_size_y
      - .offset:         40
        .size:           2
        .value_kind:     hidden_group_size_z
      - .offset:         42
        .size:           2
        .value_kind:     hidden_remainder_x
      - .offset:         44
        .size:           2
        .value_kind:     hidden_remainder_y
      - .offset:         46
        .size:           2
        .value_kind:     hidden_remainder_z
      - .offset:         64
        .size:           8
        .value_kind:     hidden_global_offset_x
      - .offset:         72
        .size:           8
        .value_kind:     hidden_global_offset_y
      - .offset:         80
        .size:           8
        .value_kind:     hidden_global_offset_z
      - .offset:         88
        .size:           2
        .value_kind:     hidden_grid_dims
    .group_segment_fixed_size: 4096
    .kernarg_segment_align: 8
    .kernarg_segment_size: 280
    .language:       OpenCL C
    .language_version:
      - 2
      - 0
    .max_flat_workgroup_size: 1024
    .name:           _Z9transposePKiPiii
    .private_segment_fixed_size: 0
    .sgpr_count:     14
    .sgpr_spill_count: 0
    .symbol:         _Z9transposePKiPiii.kd
    .uniform_work_group_size: 1
    .uses_dynamic_stack: false
    .vgpr_count:     5
    .vgpr_spill_count: 0
    .wavefront_size: 32
  - .args:
      - .address_space:  global
        .offset:         0
        .size:           8
        .value_kind:     global_buffer
    .group_segment_fixed_size: 0
    .kernarg_segment_align: 8
    .kernarg_segment_size: 8
    .language:       OpenCL C
    .language_version:
      - 2
      - 0
    .max_flat_workgroup_size: 1024
    .name:           _Z15test_kern_largePm
    .private_segment_fixed_size: 16016
    .sgpr_count:     8
    .sgpr_spill_count: 0
    .symbol:         _Z15test_kern_largePm.kd
    .uniform_work_group_size: 1
    .uses_dynamic_stack: false
    .vgpr_count:     30
    .vgpr_spill_count: 0
    .wavefront_size: 32
  - .args:
      - .address_space:  global
        .offset:         0
        .size:           8
        .value_kind:     global_buffer
    .group_segment_fixed_size: 0
    .kernarg_segment_align: 8
    .kernarg_segment_size: 8
    .language:       OpenCL C
    .language_version:
      - 2
      - 0
    .max_flat_workgroup_size: 1024
    .name:           _Z16test_kern_mediumPm
    .private_segment_fixed_size: 0
    .sgpr_count:     6
    .sgpr_spill_count: 0
    .symbol:         _Z16test_kern_mediumPm.kd
    .uniform_work_group_size: 1
    .uses_dynamic_stack: false
    .vgpr_count:     3
    .vgpr_spill_count: 0
    .wavefront_size: 32
  - .args:
      - .address_space:  global
        .offset:         0
        .size:           8
        .value_kind:     global_buffer
    .group_segment_fixed_size: 0
    .kernarg_segment_align: 8
    .kernarg_segment_size: 8
    .language:       OpenCL C
    .language_version:
      - 2
      - 0
    .max_flat_workgroup_size: 1024
    .name:           _Z15test_kern_smallPm
    .private_segment_fixed_size: 0
    .sgpr_count:     0
    .sgpr_spill_count: 0
    .symbol:         _Z15test_kern_smallPm.kd
    .uniform_work_group_size: 1
    .uses_dynamic_stack: false
    .vgpr_count:     0
    .vgpr_spill_count: 0
    .wavefront_size: 32
  - .args:
      - .address_space:  global
        .offset:         0
        .size:           8
        .value_kind:     global_buffer
      - .offset:         8
        .size:           8
        .value_kind:     by_value
      - .offset:         16
        .size:           4
        .value_kind:     hidden_block_count_x
      - .offset:         20
        .size:           4
        .value_kind:     hidden_block_count_y
      - .offset:         24
        .size:           4
        .value_kind:     hidden_block_count_z
      - .offset:         28
        .size:           2
        .value_kind:     hidden_group_size_x
      - .offset:         30
        .size:           2
        .value_kind:     hidden_group_size_y
      - .offset:         32
        .size:           2
        .value_kind:     hidden_group_size_z
      - .offset:         34
        .size:           2
        .value_kind:     hidden_remainder_x
      - .offset:         36
        .size:           2
        .value_kind:     hidden_remainder_y
      - .offset:         38
        .size:           2
        .value_kind:     hidden_remainder_z
      - .offset:         56
        .size:           8
        .value_kind:     hidden_global_offset_x
      - .offset:         64
        .size:           8
        .value_kind:     hidden_global_offset_y
      - .offset:         72
        .size:           8
        .value_kind:     hidden_global_offset_z
      - .offset:         80
        .size:           2
        .value_kind:     hidden_grid_dims
    .group_segment_fixed_size: 0
    .kernarg_segment_align: 8
    .kernarg_segment_size: 272
    .language:       OpenCL C
    .language_version:
      - 2
      - 0
    .max_flat_workgroup_size: 1024
    .name:           _Z17test_page_migrateImEvPT_S0_
    .private_segment_fixed_size: 0
    .sgpr_count:     8
    .sgpr_spill_count: 0
    .symbol:         _Z17test_page_migrateImEvPT_S0_.kd
    .uniform_work_group_size: 1
    .uses_dynamic_stack: false
    .vgpr_count:     3
    .vgpr_spill_count: 0
    .wavefront_size: 32
amdhsa.target:   amdgcn-amd-amdhsa--gfx1250
amdhsa.version:
  - 1
  - 2
...

	.end_amdgpu_metadata
